;; amdgpu-corpus repo=ROCm/aiter kind=compiled arch=gfx1250 opt=O3
	.amdgcn_target "amdgcn-amd-amdhsa--gfx1250"
	.amdhsa_code_object_version 6
	.section	.text._ZN12_GLOBAL__N_112finfo_kernelEPf,"axG",@progbits,_ZN12_GLOBAL__N_112finfo_kernelEPf,comdat
	.globl	_ZN12_GLOBAL__N_112finfo_kernelEPf ; -- Begin function _ZN12_GLOBAL__N_112finfo_kernelEPf
	.p2align	8
	.type	_ZN12_GLOBAL__N_112finfo_kernelEPf,@function
_ZN12_GLOBAL__N_112finfo_kernelEPf:     ; @_ZN12_GLOBAL__N_112finfo_kernelEPf
; %bb.0:
	s_mov_b32 s2, exec_lo
	v_cmpx_eq_u32_e32 0, v0
	s_cbranch_execz .LBB0_2
; %bb.1:
	s_get_pc_i64 s[4:5]
	s_add_nc_u64 s[4:5], s[4:5], _ZN4opus5finfoIfE4bitsE@rel64+4
	s_get_pc_i64 s[6:7]
	s_add_nc_u64 s[6:7], s[6:7], _ZN4opus5finfoIDhE4bitsE@rel64+4
	s_load_b64 s[2:3], s[0:1], 0x0
	s_load_b32 s8, s[4:5], 0x0
	s_wait_xcnt 0x0
	s_get_pc_i64 s[0:1]
	s_add_nc_u64 s[0:1], s[0:1], _ZN4opus5finfoIDF16bE4bitsE@rel64+4
	s_load_b32 s6, s[6:7], 0x0
	s_get_pc_i64 s[4:5]
	s_add_nc_u64 s[4:5], s[4:5], _ZN4opus5finfoIDU8_E4bitsE@rel64+4
	s_wait_xcnt 0x0
	s_load_b32 s7, s[0:1], 0x0
	s_wait_xcnt 0x0
	s_get_pc_i64 s[0:1]
	s_add_nc_u64 s[0:1], s[0:1], _ZN4opus5finfoIDB8_E4bitsE@rel64+4
	s_load_b32 s10, s[4:5], 0x0
	s_load_b32 s9, s[0:1], 0x0
	s_wait_xcnt 0x0
	s_get_pc_i64 s[0:1]
	s_add_nc_u64 s[0:1], s[0:1], _ZN4opus5finfoINS_5fp4_tEE4bitsE@rel64+4
	s_get_pc_i64 s[4:5]
	s_add_nc_u64 s[4:5], s[4:5], _ZN4opus5finfoINS_6e8m0_tEE4bitsE@rel64+4
	s_load_b32 s0, s[0:1], 0x0
	v_dual_mov_b32 v11, 0 :: v_dual_mov_b32 v2, 0xff7fffff
	s_wait_xcnt 0x0
	s_load_b32 s1, s[4:5], 0x0
	v_bfrev_b32_e32 v0, 44
	v_mov_b32_e32 v1, 0x7f7fffff
	v_mov_b32_e32 v3, 0x800000
	;; [unrolled: 1-line block ×5, first 2 shown]
	s_wait_kmcnt 0x0
	v_dual_mov_b32 v4, s8 :: v_dual_mov_b32 v13, 0x3e000000
	v_mov_b32_e32 v10, s6
	global_store_b128 v11, v[0:3], s[2:3]
	s_wait_xcnt 0x0
	v_bfrev_b32_e32 v0, 60
	v_mov_b32_e32 v1, 0x7f7f0000
	v_mov_b32_e32 v2, 0xff7f0000
	;; [unrolled: 1-line block ×9, first 2 shown]
	s_clause 0x4
	global_store_b96 v11, v[4:6], s[2:3] offset:16
	global_store_b96 v11, v[8:10], s[2:3] offset:28
	global_store_b128 v11, v[0:3], s[2:3] offset:40
	global_store_b96 v11, v[12:14], s[2:3] offset:56
	global_store_b96 v11, v[16:18], s[2:3] offset:68
	s_wait_xcnt 0x1
	v_dual_mov_b32 v13, 1.0 :: v_dual_mov_b32 v6, 0x400000
	v_mov_b32_e32 v0, 0x3e800000
	v_mov_b32_e32 v1, 0x47600000
	v_dual_mov_b32 v2, 0xc7600000 :: v_dual_mov_b32 v3, v9
	v_dual_mov_b32 v8, s10 :: v_dual_mov_b32 v9, 0.5
	v_mov_b32_e32 v10, 0x40c00000
	v_mov_b32_e32 v12, 0xc0c00000
	v_dual_mov_b32 v14, s0 :: v_dual_mov_b32 v5, 0x7f000000
	v_dual_mov_b32 v4, v13 :: v_dual_mov_b32 v7, v6
	s_clause 0x4
	global_store_b128 v11, v[0:3], s[2:3] offset:80
	global_store_b96 v11, v[8:10], s[2:3] offset:96
	global_store_b96 v11, v[12:14], s[2:3] offset:108
	global_store_b128 v11, v[4:7], s[2:3] offset:120
	global_store_b32 v11, v15, s[2:3] offset:136
.LBB0_2:
	s_endpgm
	.section	.rodata,"a",@progbits
	.p2align	6, 0x0
	.amdhsa_kernel _ZN12_GLOBAL__N_112finfo_kernelEPf
		.amdhsa_group_segment_fixed_size 0
		.amdhsa_private_segment_fixed_size 0
		.amdhsa_kernarg_size 8
		.amdhsa_user_sgpr_count 2
		.amdhsa_user_sgpr_dispatch_ptr 0
		.amdhsa_user_sgpr_queue_ptr 0
		.amdhsa_user_sgpr_kernarg_segment_ptr 1
		.amdhsa_user_sgpr_dispatch_id 0
		.amdhsa_user_sgpr_kernarg_preload_length 0
		.amdhsa_user_sgpr_kernarg_preload_offset 0
		.amdhsa_user_sgpr_private_segment_size 0
		.amdhsa_wavefront_size32 1
		.amdhsa_uses_dynamic_stack 0
		.amdhsa_enable_private_segment 0
		.amdhsa_system_sgpr_workgroup_id_x 1
		.amdhsa_system_sgpr_workgroup_id_y 0
		.amdhsa_system_sgpr_workgroup_id_z 0
		.amdhsa_system_sgpr_workgroup_info 0
		.amdhsa_system_vgpr_workitem_id 0
		.amdhsa_next_free_vgpr 19
		.amdhsa_next_free_sgpr 11
		.amdhsa_named_barrier_count 0
		.amdhsa_reserve_vcc 0
		.amdhsa_float_round_mode_32 0
		.amdhsa_float_round_mode_16_64 0
		.amdhsa_float_denorm_mode_32 3
		.amdhsa_float_denorm_mode_16_64 3
		.amdhsa_fp16_overflow 0
		.amdhsa_memory_ordered 1
		.amdhsa_forward_progress 1
		.amdhsa_inst_pref_size 5
		.amdhsa_round_robin_scheduling 0
		.amdhsa_exception_fp_ieee_invalid_op 0
		.amdhsa_exception_fp_denorm_src 0
		.amdhsa_exception_fp_ieee_div_zero 0
		.amdhsa_exception_fp_ieee_overflow 0
		.amdhsa_exception_fp_ieee_underflow 0
		.amdhsa_exception_fp_ieee_inexact 0
		.amdhsa_exception_int_div_zero 0
	.end_amdhsa_kernel
	.section	.text._ZN12_GLOBAL__N_112finfo_kernelEPf,"axG",@progbits,_ZN12_GLOBAL__N_112finfo_kernelEPf,comdat
.Lfunc_end0:
	.size	_ZN12_GLOBAL__N_112finfo_kernelEPf, .Lfunc_end0-_ZN12_GLOBAL__N_112finfo_kernelEPf
                                        ; -- End function
	.set _ZN12_GLOBAL__N_112finfo_kernelEPf.num_vgpr, 19
	.set _ZN12_GLOBAL__N_112finfo_kernelEPf.num_agpr, 0
	.set _ZN12_GLOBAL__N_112finfo_kernelEPf.numbered_sgpr, 11
	.set _ZN12_GLOBAL__N_112finfo_kernelEPf.num_named_barrier, 0
	.set _ZN12_GLOBAL__N_112finfo_kernelEPf.private_seg_size, 0
	.set _ZN12_GLOBAL__N_112finfo_kernelEPf.uses_vcc, 0
	.set _ZN12_GLOBAL__N_112finfo_kernelEPf.uses_flat_scratch, 0
	.set _ZN12_GLOBAL__N_112finfo_kernelEPf.has_dyn_sized_stack, 0
	.set _ZN12_GLOBAL__N_112finfo_kernelEPf.has_recursion, 0
	.set _ZN12_GLOBAL__N_112finfo_kernelEPf.has_indirect_call, 0
	.section	.AMDGPU.csdata,"",@progbits
; Kernel info:
; codeLenInByte = 584
; TotalNumSgprs: 11
; NumVgprs: 19
; ScratchSize: 0
; MemoryBound: 1
; FloatMode: 240
; IeeeMode: 1
; LDSByteSize: 0 bytes/workgroup (compile time only)
; SGPRBlocks: 0
; VGPRBlocks: 1
; NumSGPRsForWavesPerEU: 11
; NumVGPRsForWavesPerEU: 19
; NamedBarCnt: 0
; Occupancy: 16
; WaveLimiterHint : 1
; COMPUTE_PGM_RSRC2:SCRATCH_EN: 0
; COMPUTE_PGM_RSRC2:USER_SGPR: 2
; COMPUTE_PGM_RSRC2:TRAP_HANDLER: 0
; COMPUTE_PGM_RSRC2:TGID_X_EN: 1
; COMPUTE_PGM_RSRC2:TGID_Y_EN: 0
; COMPUTE_PGM_RSRC2:TGID_Z_EN: 0
; COMPUTE_PGM_RSRC2:TIDIG_COMP_CNT: 0
	.section	.AMDGPU.gpr_maximums,"",@progbits
	.set amdgpu.max_num_vgpr, 0
	.set amdgpu.max_num_agpr, 0
	.set amdgpu.max_num_sgpr, 0
	.section	.AMDGPU.csdata,"",@progbits
	.protected	_ZN4opus5finfoIfE4bitsE ; @_ZN4opus5finfoIfE4bitsE
	.type	_ZN4opus5finfoIfE4bitsE,@object
	.section	.rodata._ZN4opus5finfoIfE4bitsE,"aG",@progbits,_ZN4opus5finfoIfE4bitsE,comdat
	.weak	_ZN4opus5finfoIfE4bitsE
	.p2align	2, 0x0
_ZN4opus5finfoIfE4bitsE:
	.long	32                              ; 0x20
	.size	_ZN4opus5finfoIfE4bitsE, 4

	.protected	_ZN4opus5finfoIDhE4bitsE ; @_ZN4opus5finfoIDhE4bitsE
	.type	_ZN4opus5finfoIDhE4bitsE,@object
	.section	.rodata._ZN4opus5finfoIDhE4bitsE,"aG",@progbits,_ZN4opus5finfoIDhE4bitsE,comdat
	.weak	_ZN4opus5finfoIDhE4bitsE
	.p2align	2, 0x0
_ZN4opus5finfoIDhE4bitsE:
	.long	16                              ; 0x10
	.size	_ZN4opus5finfoIDhE4bitsE, 4

	.protected	_ZN4opus5finfoIDF16bE4bitsE ; @_ZN4opus5finfoIDF16bE4bitsE
	.type	_ZN4opus5finfoIDF16bE4bitsE,@object
	.section	.rodata._ZN4opus5finfoIDF16bE4bitsE,"aG",@progbits,_ZN4opus5finfoIDF16bE4bitsE,comdat
	.weak	_ZN4opus5finfoIDF16bE4bitsE
	.p2align	2, 0x0
_ZN4opus5finfoIDF16bE4bitsE:
	.long	16                              ; 0x10
	.size	_ZN4opus5finfoIDF16bE4bitsE, 4

	.protected	_ZN4opus5finfoIDB8_E4bitsE ; @_ZN4opus5finfoIDB8_E4bitsE
	.type	_ZN4opus5finfoIDB8_E4bitsE,@object
	.section	.rodata._ZN4opus5finfoIDB8_E4bitsE,"aG",@progbits,_ZN4opus5finfoIDB8_E4bitsE,comdat
	.weak	_ZN4opus5finfoIDB8_E4bitsE
	.p2align	2, 0x0
_ZN4opus5finfoIDB8_E4bitsE:
	.long	8                               ; 0x8
	.size	_ZN4opus5finfoIDB8_E4bitsE, 4

	.protected	_ZN4opus5finfoIDU8_E4bitsE ; @_ZN4opus5finfoIDU8_E4bitsE
	.type	_ZN4opus5finfoIDU8_E4bitsE,@object
	.section	.rodata._ZN4opus5finfoIDU8_E4bitsE,"aG",@progbits,_ZN4opus5finfoIDU8_E4bitsE,comdat
	.weak	_ZN4opus5finfoIDU8_E4bitsE
	.p2align	2, 0x0
_ZN4opus5finfoIDU8_E4bitsE:
	.long	8                               ; 0x8
	.size	_ZN4opus5finfoIDU8_E4bitsE, 4

	.protected	_ZN4opus5finfoINS_5fp4_tEE4bitsE ; @_ZN4opus5finfoINS_5fp4_tEE4bitsE
	.type	_ZN4opus5finfoINS_5fp4_tEE4bitsE,@object
	.section	.rodata._ZN4opus5finfoINS_5fp4_tEE4bitsE,"aG",@progbits,_ZN4opus5finfoINS_5fp4_tEE4bitsE,comdat
	.weak	_ZN4opus5finfoINS_5fp4_tEE4bitsE
	.p2align	2, 0x0
_ZN4opus5finfoINS_5fp4_tEE4bitsE:
	.long	4                               ; 0x4
	.size	_ZN4opus5finfoINS_5fp4_tEE4bitsE, 4

	.protected	_ZN4opus5finfoINS_6e8m0_tEE4bitsE ; @_ZN4opus5finfoINS_6e8m0_tEE4bitsE
	.type	_ZN4opus5finfoINS_6e8m0_tEE4bitsE,@object
	.section	.rodata._ZN4opus5finfoINS_6e8m0_tEE4bitsE,"aG",@progbits,_ZN4opus5finfoINS_6e8m0_tEE4bitsE,comdat
	.weak	_ZN4opus5finfoINS_6e8m0_tEE4bitsE
	.p2align	2, 0x0
_ZN4opus5finfoINS_6e8m0_tEE4bitsE:
	.long	8                               ; 0x8
	.size	_ZN4opus5finfoINS_6e8m0_tEE4bitsE, 4

	.type	__hip_cuid_89452ab2863bcd14,@object ; @__hip_cuid_89452ab2863bcd14
	.section	.bss,"aw",@nobits
	.globl	__hip_cuid_89452ab2863bcd14
__hip_cuid_89452ab2863bcd14:
	.byte	0                               ; 0x0
	.size	__hip_cuid_89452ab2863bcd14, 1

	.ident	"AMD clang version 22.0.0git (https://github.com/RadeonOpenCompute/llvm-project roc-7.2.4 26084 f58b06dce1f9c15707c5f808fd002e18c2accf7e)"
	.section	".note.GNU-stack","",@progbits
	.addrsig
	.addrsig_sym __hip_cuid_89452ab2863bcd14
	.amdgpu_metadata
---
amdhsa.kernels:
  - .args:
      - .address_space:  global
        .offset:         0
        .size:           8
        .value_kind:     global_buffer
    .group_segment_fixed_size: 0
    .kernarg_segment_align: 8
    .kernarg_segment_size: 8
    .language:       OpenCL C
    .language_version:
      - 2
      - 0
    .max_flat_workgroup_size: 1024
    .name:           _ZN12_GLOBAL__N_112finfo_kernelEPf
    .private_segment_fixed_size: 0
    .sgpr_count:     11
    .sgpr_spill_count: 0
    .symbol:         _ZN12_GLOBAL__N_112finfo_kernelEPf.kd
    .uniform_work_group_size: 1
    .uses_dynamic_stack: false
    .vgpr_count:     19
    .vgpr_spill_count: 0
    .wavefront_size: 32
amdhsa.target:   amdgcn-amd-amdhsa--gfx1250
amdhsa.version:
  - 1
  - 2
...

	.end_amdgpu_metadata
